;; amdgpu-corpus repo=ROCm/rocFFT kind=compiled arch=gfx906 opt=O3
	.text
	.amdgcn_target "amdgcn-amd-amdhsa--gfx906"
	.amdhsa_code_object_version 6
	.protected	fft_rtc_back_len360_factors_10_6_6_wgs_240_tpt_60_halfLds_dp_op_CI_CI_unitstride_sbrr_dirReg ; -- Begin function fft_rtc_back_len360_factors_10_6_6_wgs_240_tpt_60_halfLds_dp_op_CI_CI_unitstride_sbrr_dirReg
	.globl	fft_rtc_back_len360_factors_10_6_6_wgs_240_tpt_60_halfLds_dp_op_CI_CI_unitstride_sbrr_dirReg
	.p2align	8
	.type	fft_rtc_back_len360_factors_10_6_6_wgs_240_tpt_60_halfLds_dp_op_CI_CI_unitstride_sbrr_dirReg,@function
fft_rtc_back_len360_factors_10_6_6_wgs_240_tpt_60_halfLds_dp_op_CI_CI_unitstride_sbrr_dirReg: ; @fft_rtc_back_len360_factors_10_6_6_wgs_240_tpt_60_halfLds_dp_op_CI_CI_unitstride_sbrr_dirReg
; %bb.0:
	s_load_dwordx4 s[8:11], s[4:5], 0x58
	s_load_dwordx4 s[12:15], s[4:5], 0x0
	;; [unrolled: 1-line block ×3, first 2 shown]
	v_mul_u32_u24_e32 v1, 0x445, v0
	v_lshrrev_b32_e32 v42, 16, v1
	v_mov_b32_e32 v1, 0
	s_waitcnt lgkmcnt(0)
	v_cmp_lt_u64_e64 s[0:1], s[14:15], 2
	v_mov_b32_e32 v40, 0
	v_lshl_add_u32 v3, s6, 2, v42
	v_mov_b32_e32 v4, v1
	s_and_b64 vcc, exec, s[0:1]
	v_mov_b32_e32 v41, 0
	s_cbranch_vccnz .LBB0_8
; %bb.1:
	s_load_dwordx2 s[0:1], s[4:5], 0x10
	s_add_u32 s2, s18, 8
	s_addc_u32 s3, s19, 0
	s_add_u32 s6, s16, 8
	v_mov_b32_e32 v40, 0
	s_addc_u32 s7, s17, 0
	v_mov_b32_e32 v41, 0
	s_waitcnt lgkmcnt(0)
	s_add_u32 s20, s0, 8
	v_mov_b32_e32 v49, v41
	s_addc_u32 s21, s1, 0
	s_mov_b64 s[22:23], 1
	v_mov_b32_e32 v48, v40
.LBB0_2:                                ; =>This Inner Loop Header: Depth=1
	s_load_dwordx2 s[24:25], s[20:21], 0x0
                                        ; implicit-def: $vgpr50_vgpr51
	s_waitcnt lgkmcnt(0)
	v_or_b32_e32 v2, s25, v4
	v_cmp_ne_u64_e32 vcc, 0, v[1:2]
	s_and_saveexec_b64 s[0:1], vcc
	s_xor_b64 s[26:27], exec, s[0:1]
	s_cbranch_execz .LBB0_4
; %bb.3:                                ;   in Loop: Header=BB0_2 Depth=1
	v_cvt_f32_u32_e32 v2, s24
	v_cvt_f32_u32_e32 v5, s25
	s_sub_u32 s0, 0, s24
	s_subb_u32 s1, 0, s25
	v_mac_f32_e32 v2, 0x4f800000, v5
	v_rcp_f32_e32 v2, v2
	v_mul_f32_e32 v2, 0x5f7ffffc, v2
	v_mul_f32_e32 v5, 0x2f800000, v2
	v_trunc_f32_e32 v5, v5
	v_mac_f32_e32 v2, 0xcf800000, v5
	v_cvt_u32_f32_e32 v5, v5
	v_cvt_u32_f32_e32 v2, v2
	v_mul_lo_u32 v6, s0, v5
	v_mul_hi_u32 v7, s0, v2
	v_mul_lo_u32 v9, s1, v2
	v_mul_lo_u32 v8, s0, v2
	v_add_u32_e32 v6, v7, v6
	v_add_u32_e32 v6, v6, v9
	v_mul_hi_u32 v7, v2, v8
	v_mul_lo_u32 v9, v2, v6
	v_mul_hi_u32 v11, v2, v6
	v_mul_hi_u32 v10, v5, v8
	v_mul_lo_u32 v8, v5, v8
	v_mul_hi_u32 v12, v5, v6
	v_add_co_u32_e32 v7, vcc, v7, v9
	v_addc_co_u32_e32 v9, vcc, 0, v11, vcc
	v_mul_lo_u32 v6, v5, v6
	v_add_co_u32_e32 v7, vcc, v7, v8
	v_addc_co_u32_e32 v7, vcc, v9, v10, vcc
	v_addc_co_u32_e32 v8, vcc, 0, v12, vcc
	v_add_co_u32_e32 v6, vcc, v7, v6
	v_addc_co_u32_e32 v7, vcc, 0, v8, vcc
	v_add_co_u32_e32 v2, vcc, v2, v6
	v_addc_co_u32_e32 v5, vcc, v5, v7, vcc
	v_mul_lo_u32 v6, s0, v5
	v_mul_hi_u32 v7, s0, v2
	v_mul_lo_u32 v8, s1, v2
	v_mul_lo_u32 v9, s0, v2
	v_add_u32_e32 v6, v7, v6
	v_add_u32_e32 v6, v6, v8
	v_mul_lo_u32 v10, v2, v6
	v_mul_hi_u32 v11, v2, v9
	v_mul_hi_u32 v12, v2, v6
	;; [unrolled: 1-line block ×3, first 2 shown]
	v_mul_lo_u32 v9, v5, v9
	v_mul_hi_u32 v7, v5, v6
	v_add_co_u32_e32 v10, vcc, v11, v10
	v_addc_co_u32_e32 v11, vcc, 0, v12, vcc
	v_mul_lo_u32 v6, v5, v6
	v_add_co_u32_e32 v9, vcc, v10, v9
	v_addc_co_u32_e32 v8, vcc, v11, v8, vcc
	v_addc_co_u32_e32 v7, vcc, 0, v7, vcc
	v_add_co_u32_e32 v6, vcc, v8, v6
	v_addc_co_u32_e32 v7, vcc, 0, v7, vcc
	v_add_co_u32_e32 v2, vcc, v2, v6
	v_addc_co_u32_e32 v7, vcc, v5, v7, vcc
	v_mad_u64_u32 v[5:6], s[0:1], v3, v7, 0
	v_mul_hi_u32 v8, v3, v2
	v_add_co_u32_e32 v9, vcc, v8, v5
	v_addc_co_u32_e32 v10, vcc, 0, v6, vcc
	v_mad_u64_u32 v[5:6], s[0:1], v4, v2, 0
	v_mad_u64_u32 v[7:8], s[0:1], v4, v7, 0
	v_add_co_u32_e32 v2, vcc, v9, v5
	v_addc_co_u32_e32 v2, vcc, v10, v6, vcc
	v_addc_co_u32_e32 v5, vcc, 0, v8, vcc
	v_add_co_u32_e32 v2, vcc, v2, v7
	v_addc_co_u32_e32 v7, vcc, 0, v5, vcc
	v_mul_lo_u32 v8, s25, v2
	v_mul_lo_u32 v9, s24, v7
	v_mad_u64_u32 v[5:6], s[0:1], s24, v2, 0
	v_add3_u32 v6, v6, v9, v8
	v_sub_u32_e32 v8, v4, v6
	v_mov_b32_e32 v9, s25
	v_sub_co_u32_e32 v5, vcc, v3, v5
	v_subb_co_u32_e64 v8, s[0:1], v8, v9, vcc
	v_subrev_co_u32_e64 v9, s[0:1], s24, v5
	v_subbrev_co_u32_e64 v8, s[0:1], 0, v8, s[0:1]
	v_cmp_le_u32_e64 s[0:1], s25, v8
	v_cndmask_b32_e64 v10, 0, -1, s[0:1]
	v_cmp_le_u32_e64 s[0:1], s24, v9
	v_cndmask_b32_e64 v9, 0, -1, s[0:1]
	v_cmp_eq_u32_e64 s[0:1], s25, v8
	v_cndmask_b32_e64 v8, v10, v9, s[0:1]
	v_add_co_u32_e64 v9, s[0:1], 2, v2
	v_addc_co_u32_e64 v10, s[0:1], 0, v7, s[0:1]
	v_add_co_u32_e64 v11, s[0:1], 1, v2
	v_addc_co_u32_e64 v12, s[0:1], 0, v7, s[0:1]
	v_subb_co_u32_e32 v6, vcc, v4, v6, vcc
	v_cmp_ne_u32_e64 s[0:1], 0, v8
	v_cmp_le_u32_e32 vcc, s25, v6
	v_cndmask_b32_e64 v8, v12, v10, s[0:1]
	v_cndmask_b32_e64 v10, 0, -1, vcc
	v_cmp_le_u32_e32 vcc, s24, v5
	v_cndmask_b32_e64 v5, 0, -1, vcc
	v_cmp_eq_u32_e32 vcc, s25, v6
	v_cndmask_b32_e32 v5, v10, v5, vcc
	v_cmp_ne_u32_e32 vcc, 0, v5
	v_cndmask_b32_e64 v5, v11, v9, s[0:1]
	v_cndmask_b32_e32 v51, v7, v8, vcc
	v_cndmask_b32_e32 v50, v2, v5, vcc
.LBB0_4:                                ;   in Loop: Header=BB0_2 Depth=1
	s_andn2_saveexec_b64 s[0:1], s[26:27]
	s_cbranch_execz .LBB0_6
; %bb.5:                                ;   in Loop: Header=BB0_2 Depth=1
	v_cvt_f32_u32_e32 v2, s24
	s_sub_i32 s26, 0, s24
	v_mov_b32_e32 v51, v1
	v_rcp_iflag_f32_e32 v2, v2
	v_mul_f32_e32 v2, 0x4f7ffffe, v2
	v_cvt_u32_f32_e32 v2, v2
	v_mul_lo_u32 v5, s26, v2
	v_mul_hi_u32 v5, v2, v5
	v_add_u32_e32 v2, v2, v5
	v_mul_hi_u32 v2, v3, v2
	v_mul_lo_u32 v5, v2, s24
	v_add_u32_e32 v6, 1, v2
	v_sub_u32_e32 v5, v3, v5
	v_subrev_u32_e32 v7, s24, v5
	v_cmp_le_u32_e32 vcc, s24, v5
	v_cndmask_b32_e32 v5, v5, v7, vcc
	v_cndmask_b32_e32 v2, v2, v6, vcc
	v_add_u32_e32 v6, 1, v2
	v_cmp_le_u32_e32 vcc, s24, v5
	v_cndmask_b32_e32 v50, v2, v6, vcc
.LBB0_6:                                ;   in Loop: Header=BB0_2 Depth=1
	s_or_b64 exec, exec, s[0:1]
	v_mul_lo_u32 v2, v51, s24
	v_mul_lo_u32 v7, v50, s25
	v_mad_u64_u32 v[5:6], s[0:1], v50, s24, 0
	s_load_dwordx2 s[0:1], s[6:7], 0x0
	s_load_dwordx2 s[24:25], s[2:3], 0x0
	v_add3_u32 v2, v6, v7, v2
	v_sub_co_u32_e32 v3, vcc, v3, v5
	v_subb_co_u32_e32 v2, vcc, v4, v2, vcc
	s_waitcnt lgkmcnt(0)
	v_mul_lo_u32 v4, s0, v2
	v_mul_lo_u32 v5, s1, v3
	v_mad_u64_u32 v[40:41], s[0:1], s0, v3, v[40:41]
	v_mul_lo_u32 v2, s24, v2
	v_mul_lo_u32 v6, s25, v3
	v_mad_u64_u32 v[48:49], s[0:1], s24, v3, v[48:49]
	s_add_u32 s22, s22, 1
	s_addc_u32 s23, s23, 0
	s_add_u32 s2, s2, 8
	v_add3_u32 v49, v6, v49, v2
	s_addc_u32 s3, s3, 0
	v_mov_b32_e32 v2, s14
	s_add_u32 s6, s6, 8
	v_mov_b32_e32 v3, s15
	s_addc_u32 s7, s7, 0
	v_cmp_ge_u64_e32 vcc, s[22:23], v[2:3]
	s_add_u32 s20, s20, 8
	v_add3_u32 v41, v5, v41, v4
	s_addc_u32 s21, s21, 0
	s_cbranch_vccnz .LBB0_9
; %bb.7:                                ;   in Loop: Header=BB0_2 Depth=1
	v_mov_b32_e32 v3, v50
	v_mov_b32_e32 v4, v51
	s_branch .LBB0_2
.LBB0_8:
	v_mov_b32_e32 v49, v41
	v_mov_b32_e32 v51, v4
	;; [unrolled: 1-line block ×4, first 2 shown]
.LBB0_9:
	s_lshl_b64 s[14:15], s[14:15], 3
	s_load_dwordx2 s[0:1], s[4:5], 0x28
	s_add_u32 s2, s18, s14
	s_mov_b32 s3, 0x4444445
	v_mul_hi_u32 v1, v0, s3
	s_addc_u32 s3, s19, s15
	s_load_dwordx2 s[2:3], s[2:3], 0x0
	s_waitcnt lgkmcnt(0)
	v_cmp_gt_u64_e32 vcc, s[0:1], v[50:51]
	v_mul_u32_u24_e32 v1, 60, v1
	v_sub_u32_e32 v52, v0, v1
	v_mov_b32_e32 v53, 0
                                        ; implicit-def: $vgpr18_vgpr19
                                        ; implicit-def: $vgpr34_vgpr35
                                        ; implicit-def: $vgpr22_vgpr23
                                        ; implicit-def: $vgpr30_vgpr31
                                        ; implicit-def: $vgpr26_vgpr27
                                        ; implicit-def: $vgpr38_vgpr39
                                        ; implicit-def: $vgpr14_vgpr15
                                        ; implicit-def: $vgpr10_vgpr11
                                        ; implicit-def: $vgpr6_vgpr7
                                        ; implicit-def: $vgpr2_vgpr3
	s_and_saveexec_b64 s[4:5], vcc
	s_cbranch_execz .LBB0_13
; %bb.10:
	v_cmp_gt_u32_e64 s[0:1], 36, v52
                                        ; implicit-def: $vgpr0_vgpr1
                                        ; implicit-def: $vgpr4_vgpr5
                                        ; implicit-def: $vgpr8_vgpr9
                                        ; implicit-def: $vgpr12_vgpr13
                                        ; implicit-def: $vgpr36_vgpr37
                                        ; implicit-def: $vgpr24_vgpr25
                                        ; implicit-def: $vgpr28_vgpr29
                                        ; implicit-def: $vgpr20_vgpr21
                                        ; implicit-def: $vgpr32_vgpr33
                                        ; implicit-def: $vgpr16_vgpr17
	s_and_saveexec_b64 s[6:7], s[0:1]
	s_cbranch_execz .LBB0_12
; %bb.11:
	s_add_u32 s0, s16, s14
	s_addc_u32 s1, s17, s15
	s_load_dwordx2 s[0:1], s[0:1], 0x0
	v_mov_b32_e32 v4, s9
	v_mov_b32_e32 v53, 0
	s_waitcnt lgkmcnt(0)
	v_mul_lo_u32 v2, s1, v50
	v_mul_lo_u32 v3, s0, v51
	v_mad_u64_u32 v[0:1], s[0:1], s0, v50, 0
	v_add3_u32 v1, v1, v3, v2
	v_lshlrev_b64 v[0:1], 4, v[0:1]
	v_add_co_u32_e64 v2, s[0:1], s8, v0
	v_addc_co_u32_e64 v3, s[0:1], v4, v1, s[0:1]
	v_lshlrev_b64 v[0:1], 4, v[40:41]
	v_add_co_u32_e64 v2, s[0:1], v2, v0
	v_addc_co_u32_e64 v3, s[0:1], v3, v1, s[0:1]
	;; [unrolled: 3-line block ×3, first 2 shown]
	s_movk_i32 s0, 0x1000
	v_add_co_u32_e64 v43, s[0:1], s0, v40
	global_load_dwordx4 v[0:3], v[40:41], off
	global_load_dwordx4 v[4:7], v[40:41], off offset:576
	global_load_dwordx4 v[8:11], v[40:41], off offset:1152
	;; [unrolled: 1-line block ×3, first 2 shown]
	v_addc_co_u32_e64 v44, s[0:1], 0, v41, s[0:1]
	global_load_dwordx4 v[36:39], v[40:41], off offset:2304
	global_load_dwordx4 v[24:27], v[40:41], off offset:2880
	;; [unrolled: 1-line block ×6, first 2 shown]
.LBB0_12:
	s_or_b64 exec, exec, s[6:7]
	v_mov_b32_e32 v53, v52
.LBB0_13:
	s_or_b64 exec, exec, s[4:5]
	s_waitcnt vmcnt(2)
	v_add_f64 v[40:41], v[20:21], v[24:25]
	s_waitcnt vmcnt(0)
	v_add_f64 v[43:44], v[14:15], -v[18:19]
	v_add_f64 v[45:46], v[16:17], v[12:13]
	v_add_f64 v[56:57], v[12:13], -v[24:25]
	v_add_f64 v[58:59], v[16:17], -v[20:21]
	s_mov_b32 s4, 0x134454ff
	s_mov_b32 s5, 0xbfee6f0e
	;; [unrolled: 1-line block ×3, first 2 shown]
	v_fma_f64 v[40:41], v[40:41], -0.5, v[4:5]
	s_mov_b32 s8, s4
	v_add_f64 v[54:55], v[26:27], -v[22:23]
	v_fma_f64 v[45:46], v[45:46], -0.5, v[4:5]
	v_add_f64 v[66:67], v[22:23], v[26:27]
	v_add_f64 v[56:57], v[58:59], v[56:57]
	;; [unrolled: 1-line block ×3, first 2 shown]
	s_mov_b32 s6, 0x4755a5e
	v_fma_f64 v[64:65], v[43:44], s[4:5], v[40:41]
	v_fma_f64 v[40:41], v[43:44], s[8:9], v[40:41]
	s_mov_b32 s7, 0xbfe2cf23
	s_mov_b32 s15, 0x3fe2cf23
	s_mov_b32 s14, s6
	v_add_f64 v[60:61], v[24:25], -v[12:13]
	v_add_f64 v[62:63], v[20:21], -v[16:17]
	v_fma_f64 v[68:69], v[54:55], s[8:9], v[45:46]
	v_fma_f64 v[45:46], v[54:55], s[4:5], v[45:46]
	;; [unrolled: 1-line block ×3, first 2 shown]
	v_fma_f64 v[66:67], v[66:67], -0.5, v[6:7]
	v_add_f64 v[70:71], v[14:15], -v[26:27]
	v_add_f64 v[72:73], v[18:19], -v[22:23]
	;; [unrolled: 1-line block ×3, first 2 shown]
	v_fma_f64 v[40:41], v[54:55], s[14:15], v[40:41]
	v_fma_f64 v[54:55], v[58:59], -0.5, v[6:7]
	v_add_f64 v[58:59], v[24:25], -v[20:21]
	v_fma_f64 v[76:77], v[43:44], s[6:7], v[68:69]
	v_add_f64 v[60:61], v[62:63], v[60:61]
	v_fma_f64 v[43:44], v[43:44], s[14:15], v[45:46]
	v_add_f64 v[45:46], v[72:73], v[70:71]
	v_fma_f64 v[62:63], v[74:75], s[8:9], v[66:67]
	v_fma_f64 v[66:67], v[74:75], s[4:5], v[66:67]
	v_add_f64 v[68:69], v[26:27], -v[14:15]
	v_add_f64 v[70:71], v[22:23], -v[18:19]
	v_fma_f64 v[72:73], v[58:59], s[4:5], v[54:55]
	v_fma_f64 v[54:55], v[58:59], s[8:9], v[54:55]
	s_mov_b32 s18, 0x372fe950
	s_mov_b32 s19, 0x3fd3c6ef
	v_fma_f64 v[62:63], v[58:59], s[14:15], v[62:63]
	v_fma_f64 v[66:67], v[58:59], s[6:7], v[66:67]
	v_cmp_gt_u32_e64 s[0:1], 36, v52
	v_add_f64 v[70:71], v[70:71], v[68:69]
	v_fma_f64 v[72:73], v[74:75], s[14:15], v[72:73]
	v_fma_f64 v[74:75], v[74:75], s[6:7], v[54:55]
	;; [unrolled: 1-line block ×10, first 2 shown]
	v_and_b32_e32 v40, 3, v42
	v_mul_u32_u24_e32 v40, 0x168, v40
	v_lshlrev_b32_e32 v70, 3, v40
	s_and_saveexec_b64 s[16:17], s[0:1]
	s_cbranch_execz .LBB0_15
; %bb.14:
	v_add_f64 v[40:41], v[32:33], v[8:9]
	v_add_f64 v[42:43], v[28:29], v[36:37]
	v_add_f64 v[44:45], v[38:39], -v[30:31]
	v_add_f64 v[46:47], v[8:9], -v[36:37]
	;; [unrolled: 1-line block ×6, first 2 shown]
	v_fma_f64 v[40:41], v[40:41], -0.5, v[0:1]
	v_fma_f64 v[42:43], v[42:43], -0.5, v[0:1]
	v_add_f64 v[0:1], v[8:9], v[0:1]
	v_add_f64 v[4:5], v[12:13], v[4:5]
	;; [unrolled: 1-line block ×4, first 2 shown]
	v_fma_f64 v[79:80], v[44:45], s[4:5], v[40:41]
	v_fma_f64 v[40:41], v[44:45], s[8:9], v[40:41]
	;; [unrolled: 1-line block ×4, first 2 shown]
	v_add_f64 v[0:1], v[36:37], v[0:1]
	v_add_f64 v[4:5], v[24:25], v[4:5]
	s_mov_b32 s9, 0xbfe9e377
	s_mov_b32 s8, 0x9b97f4a8
	v_fma_f64 v[75:76], v[73:74], s[14:15], v[79:80]
	v_fma_f64 v[40:41], v[73:74], s[6:7], v[40:41]
	v_mul_f64 v[73:74], v[62:63], s[6:7]
	v_fma_f64 v[71:72], v[44:45], s[14:15], v[71:72]
	v_fma_f64 v[24:25], v[44:45], s[6:7], v[42:43]
	v_mul_f64 v[42:43], v[60:61], s[4:5]
	v_add_f64 v[0:1], v[28:29], v[0:1]
	v_add_f64 v[4:5], v[20:21], v[4:5]
	v_fma_f64 v[79:80], v[12:13], s[18:19], v[75:76]
	v_fma_f64 v[12:13], v[12:13], s[18:19], v[40:41]
	v_mul_f64 v[40:41], v[58:59], s[6:7]
	v_mul_f64 v[44:45], v[66:67], s[4:5]
	v_fma_f64 v[20:21], v[54:55], s[8:9], v[73:74]
	s_mov_b32 s9, 0x3fe9e377
	v_fma_f64 v[81:82], v[46:47], s[18:19], v[71:72]
	v_fma_f64 v[24:25], v[46:47], s[18:19], v[24:25]
	v_fma_f64 v[71:72], v[64:65], s[18:19], v[42:43]
	v_add_f64 v[0:1], v[32:33], v[0:1]
	v_fma_f64 v[46:47], v[68:69], s[8:9], v[40:41]
	v_add_f64 v[4:5], v[16:17], v[4:5]
	s_mov_b32 s19, 0xbfd3c6ef
	v_fma_f64 v[16:17], v[56:57], s[18:19], v[44:45]
	v_add_f64 v[75:76], v[12:13], v[71:72]
	v_add_f64 v[42:43], v[12:13], -v[71:72]
	v_add_f64 v[40:41], v[24:25], -v[46:47]
	v_add_f64 v[46:47], v[24:25], v[46:47]
	v_add_f64 v[44:45], v[4:5], v[0:1]
	;; [unrolled: 1-line block ×3, first 2 shown]
	v_add_f64 v[73:74], v[0:1], -v[4:5]
	v_add_f64 v[71:72], v[81:82], v[20:21]
	v_add_f64 v[81:82], v[81:82], -v[20:21]
	v_add_f64 v[79:80], v[79:80], -v[16:17]
	v_mul_u32_u24_e32 v0, 10, v52
	v_lshlrev_b32_e32 v0, 3, v0
	v_add3_u32 v0, 0, v0, v70
	ds_write_b128 v0, v[44:47]
	ds_write_b128 v0, v[75:78] offset:16
	ds_write_b128 v0, v[71:74] offset:32
	;; [unrolled: 1-line block ×4, first 2 shown]
.LBB0_15:
	s_or_b64 exec, exec, s[16:17]
	v_lshlrev_b32_e32 v0, 3, v52
	v_add_u32_e32 v16, 0, v0
	v_add_u32_e32 v13, v16, v70
	s_waitcnt lgkmcnt(0)
	s_barrier
	v_add3_u32 v12, 0, v70, v0
	ds_read2_b64 v[40:43], v13 offset0:60 offset1:120
	ds_read2_b64 v[44:47], v13 offset0:180 offset1:240
	ds_read_b64 v[0:1], v12
	ds_read_b64 v[4:5], v13 offset:2400
	s_waitcnt lgkmcnt(0)
	s_barrier
	s_and_saveexec_b64 s[4:5], s[0:1]
	s_cbranch_execz .LBB0_17
; %bb.16:
	v_add_f64 v[20:21], v[30:31], v[38:39]
	v_add_f64 v[24:25], v[10:11], v[2:3]
	v_add_f64 v[28:29], v[36:37], -v[28:29]
	v_add_f64 v[36:37], v[34:35], v[10:11]
	v_add_f64 v[8:9], v[8:9], -v[32:33]
	s_mov_b32 s0, 0x134454ff
	v_add_f64 v[6:7], v[14:15], v[6:7]
	s_mov_b32 s1, 0x3fee6f0e
	v_fma_f64 v[20:21], v[20:21], -0.5, v[2:3]
	v_add_f64 v[24:25], v[38:39], v[24:25]
	v_add_f64 v[32:33], v[10:11], -v[38:39]
	v_fma_f64 v[2:3], v[36:37], -0.5, v[2:3]
	v_add_f64 v[71:72], v[34:35], -v[30:31]
	s_mov_b32 s15, 0xbfee6f0e
	s_mov_b32 s14, s0
	;; [unrolled: 1-line block ×3, first 2 shown]
	v_fma_f64 v[73:74], v[8:9], s[0:1], v[20:21]
	v_add_f64 v[10:11], v[38:39], -v[10:11]
	v_add_f64 v[24:25], v[30:31], v[24:25]
	v_fma_f64 v[20:21], v[8:9], s[14:15], v[20:21]
	v_fma_f64 v[36:37], v[28:29], s[14:15], v[2:3]
	v_add_f64 v[30:31], v[30:31], -v[34:35]
	v_fma_f64 v[2:3], v[28:29], s[0:1], v[2:3]
	v_add_f64 v[6:7], v[26:27], v[6:7]
	s_mov_b32 s7, 0x3fe2cf23
	v_add_f64 v[14:15], v[71:72], v[32:33]
	v_fma_f64 v[32:33], v[28:29], s[6:7], v[73:74]
	s_mov_b32 s8, 0x372fe950
	s_mov_b32 s17, 0xbfe2cf23
	;; [unrolled: 1-line block ×4, first 2 shown]
	v_fma_f64 v[20:21], v[28:29], s[16:17], v[20:21]
	v_fma_f64 v[28:29], v[8:9], s[6:7], v[36:37]
	v_add_f64 v[10:11], v[30:31], v[10:11]
	v_fma_f64 v[2:3], v[8:9], s[16:17], v[2:3]
	v_add_f64 v[6:7], v[22:23], v[6:7]
	v_mul_f64 v[8:9], v[68:69], s[6:7]
	s_mov_b32 s14, 0x9b97f4a8
	s_mov_b32 s15, 0x3fe9e377
	v_mul_f64 v[22:23], v[64:65], s[0:1]
	v_mul_f64 v[30:31], v[66:67], s[8:9]
	v_fma_f64 v[26:27], v[14:15], s[8:9], v[32:33]
	v_mul_f64 v[32:33], v[62:63], s[14:15]
	v_add_f64 v[24:25], v[34:35], v[24:25]
	v_fma_f64 v[28:29], v[10:11], s[8:9], v[28:29]
	v_fma_f64 v[2:3], v[10:11], s[8:9], v[2:3]
	v_add_f64 v[10:11], v[18:19], v[6:7]
	v_fma_f64 v[34:35], v[58:59], s[14:15], v[8:9]
	v_fma_f64 v[36:37], v[60:61], s[8:9], v[22:23]
	v_fma_f64 v[30:31], v[56:57], s[0:1], -v[30:31]
	v_fma_f64 v[14:15], v[14:15], s[8:9], v[20:21]
	v_fma_f64 v[32:33], v[54:55], s[6:7], -v[32:33]
	v_add_f64 v[6:7], v[10:11], v[24:25]
	v_add_f64 v[8:9], v[26:27], v[34:35]
	;; [unrolled: 1-line block ×4, first 2 shown]
	v_add_f64 v[23:24], v[24:25], -v[10:11]
	v_add_f64 v[21:22], v[14:15], v[32:33]
	v_add_f64 v[25:26], v[26:27], -v[34:35]
	v_add_f64 v[27:28], v[28:29], -v[36:37]
	;; [unrolled: 1-line block ×4, first 2 shown]
	v_mul_u32_u24_e32 v2, 0x48, v52
	v_add3_u32 v2, v16, v2, v70
	ds_write_b128 v2, v[6:9]
	ds_write_b128 v2, v[17:20] offset:16
	ds_write_b128 v2, v[21:24] offset:32
	;; [unrolled: 1-line block ×4, first 2 shown]
.LBB0_17:
	s_or_b64 exec, exec, s[4:5]
	s_movk_i32 s0, 0xcd
	v_mul_lo_u16_sdwa v2, v52, s0 dst_sel:DWORD dst_unused:UNUSED_PAD src0_sel:BYTE_0 src1_sel:DWORD
	v_lshrrev_b16_e32 v38, 11, v2
	v_mul_lo_u16_e32 v2, 10, v38
	v_sub_u16_e32 v39, v52, v2
	v_mov_b32_e32 v2, 5
	v_mul_u32_u24_sdwa v2, v39, v2 dst_sel:DWORD dst_unused:UNUSED_PAD src0_sel:BYTE_0 src1_sel:DWORD
	v_lshlrev_b32_e32 v2, 4, v2
	s_waitcnt lgkmcnt(0)
	s_barrier
	global_load_dwordx4 v[6:9], v2, s[12:13]
	global_load_dwordx4 v[14:17], v2, s[12:13] offset:32
	global_load_dwordx4 v[18:21], v2, s[12:13] offset:64
	;; [unrolled: 1-line block ×4, first 2 shown]
	v_mov_b32_e32 v54, 3
	v_lshlrev_b32_sdwa v39, v54, v39 dst_sel:DWORD dst_unused:UNUSED_PAD src0_sel:DWORD src1_sel:BYTE_0
	ds_read2_b64 v[30:33], v13 offset0:60 offset1:120
	ds_read2_b64 v[34:37], v13 offset0:180 offset1:240
	ds_read_b64 v[2:3], v12
	ds_read_b64 v[10:11], v13 offset:2400
	s_movk_i32 s6, 0x1e0
	v_mad_u32_u24 v38, v38, s6, 0
	v_add3_u32 v62, v38, v39, v70
	s_mov_b32 s0, 0xe8584caa
	s_mov_b32 s1, 0xbfebb67a
	;; [unrolled: 1-line block ×4, first 2 shown]
	s_waitcnt vmcnt(0) lgkmcnt(0)
	s_barrier
	v_mul_f64 v[38:39], v[30:31], v[8:9]
	v_mul_f64 v[54:55], v[44:45], v[16:17]
	;; [unrolled: 1-line block ×9, first 2 shown]
	v_fma_f64 v[34:35], v[34:35], v[14:15], -v[54:55]
	v_fma_f64 v[10:11], v[10:11], v[18:19], -v[56:57]
	v_mul_f64 v[28:29], v[46:47], v[28:29]
	v_fma_f64 v[42:43], v[42:43], v[22:23], v[58:59]
	v_fma_f64 v[14:15], v[44:45], v[14:15], v[16:17]
	;; [unrolled: 1-line block ×3, first 2 shown]
	v_fma_f64 v[8:9], v[30:31], v[6:7], -v[8:9]
	v_fma_f64 v[22:23], v[32:33], v[22:23], -v[24:25]
	v_fma_f64 v[24:25], v[46:47], v[26:27], v[60:61]
	v_add_f64 v[16:17], v[34:35], v[10:11]
	v_fma_f64 v[26:27], v[36:37], v[26:27], -v[28:29]
	v_fma_f64 v[6:7], v[40:41], v[6:7], v[38:39]
	v_add_f64 v[18:19], v[0:1], v[42:43]
	v_add_f64 v[32:33], v[14:15], v[4:5]
	v_add_f64 v[36:37], v[14:15], -v[4:5]
	v_add_f64 v[30:31], v[2:3], v[22:23]
	v_add_f64 v[20:21], v[42:43], v[24:25]
	v_fma_f64 v[16:17], v[16:17], -0.5, v[8:9]
	v_add_f64 v[28:29], v[22:23], -v[26:27]
	v_add_f64 v[22:23], v[22:23], v[26:27]
	v_add_f64 v[38:39], v[42:43], -v[24:25]
	v_add_f64 v[14:15], v[6:7], v[14:15]
	v_add_f64 v[40:41], v[34:35], -v[10:11]
	v_fma_f64 v[6:7], v[32:33], -0.5, v[6:7]
	v_add_f64 v[18:19], v[18:19], v[24:25]
	v_fma_f64 v[24:25], v[36:37], s[4:5], v[16:17]
	v_fma_f64 v[16:17], v[36:37], s[0:1], v[16:17]
	v_add_f64 v[8:9], v[8:9], v[34:35]
	v_fma_f64 v[0:1], v[20:21], -0.5, v[0:1]
	v_fma_f64 v[2:3], v[22:23], -0.5, v[2:3]
	v_add_f64 v[4:5], v[14:15], v[4:5]
	v_fma_f64 v[14:15], v[40:41], s[0:1], v[6:7]
	v_add_f64 v[20:21], v[30:31], v[26:27]
	v_mul_f64 v[22:23], v[24:25], s[0:1]
	v_fma_f64 v[6:7], v[40:41], s[4:5], v[6:7]
	v_mul_f64 v[26:27], v[16:17], s[0:1]
	v_mul_f64 v[24:25], v[24:25], 0.5
	v_add_f64 v[8:9], v[8:9], v[10:11]
	v_fma_f64 v[10:11], v[28:29], s[0:1], v[0:1]
	v_mul_f64 v[16:17], v[16:17], -0.5
	v_fma_f64 v[0:1], v[28:29], s[4:5], v[0:1]
	v_fma_f64 v[22:23], v[14:15], 0.5, v[22:23]
	v_fma_f64 v[28:29], v[38:39], s[4:5], v[2:3]
	v_fma_f64 v[26:27], v[6:7], -0.5, v[26:27]
	v_fma_f64 v[14:15], v[14:15], s[4:5], v[24:25]
	v_fma_f64 v[2:3], v[38:39], s[0:1], v[2:3]
	v_add_f64 v[30:31], v[18:19], v[4:5]
	v_fma_f64 v[6:7], v[6:7], s[4:5], v[16:17]
	v_add_f64 v[4:5], v[18:19], -v[4:5]
	v_add_f64 v[16:17], v[10:11], v[22:23]
	v_add_f64 v[10:11], v[10:11], -v[22:23]
	v_add_f64 v[18:19], v[0:1], v[26:27]
	;; [unrolled: 2-line block ×3, first 2 shown]
	v_add_f64 v[22:23], v[28:29], v[14:15]
	v_add_f64 v[20:21], v[20:21], -v[8:9]
	v_add_f64 v[24:25], v[2:3], v[6:7]
	v_add_f64 v[26:27], v[2:3], -v[6:7]
	ds_write2_b64 v62, v[30:31], v[16:17] offset1:10
	ds_write2_b64 v62, v[18:19], v[4:5] offset0:20 offset1:30
	ds_write2_b64 v62, v[10:11], v[0:1] offset0:40 offset1:50
	s_waitcnt lgkmcnt(0)
	s_barrier
	ds_read2_b64 v[4:7], v13 offset0:60 offset1:120
	ds_read2_b64 v[0:3], v13 offset0:180 offset1:240
	ds_read_b64 v[8:9], v12
	ds_read_b64 v[10:11], v13 offset:2400
	v_add_f64 v[14:15], v[28:29], -v[14:15]
	s_waitcnt lgkmcnt(0)
	s_barrier
	ds_write2_b64 v62, v[32:33], v[22:23] offset1:10
	ds_write2_b64 v62, v[24:25], v[20:21] offset0:20 offset1:30
	ds_write2_b64 v62, v[14:15], v[26:27] offset0:40 offset1:50
	s_waitcnt lgkmcnt(0)
	s_barrier
	s_and_saveexec_b64 s[6:7], vcc
	s_cbranch_execz .LBB0_19
; %bb.18:
	v_mul_u32_u24_e32 v14, 5, v52
	v_lshlrev_b32_e32 v34, 4, v14
	global_load_dwordx4 v[14:17], v34, s[12:13] offset:816
	global_load_dwordx4 v[18:21], v34, s[12:13] offset:848
	;; [unrolled: 1-line block ×5, first 2 shown]
	v_mul_lo_u32 v52, s3, v50
	v_mul_lo_u32 v51, s2, v51
	v_mad_u64_u32 v[42:43], s[2:3], s2, v50, 0
	v_mov_b32_e32 v50, s11
	v_lshlrev_b64 v[46:47], 4, v[48:49]
	v_add3_u32 v43, v43, v51, v52
	v_lshlrev_b64 v[42:43], 4, v[42:43]
	ds_read2_b64 v[34:37], v13 offset0:60 offset1:120
	ds_read2_b64 v[38:41], v13 offset0:180 offset1:240
	ds_read_b64 v[44:45], v12
	ds_read_b64 v[12:13], v13 offset:2400
	v_add_co_u32_e32 v42, vcc, s10, v42
	v_addc_co_u32_e32 v43, vcc, v50, v43, vcc
	v_mov_b32_e32 v54, 0
	v_add_co_u32_e32 v42, vcc, v42, v46
	v_lshlrev_b64 v[48:49], 4, v[53:54]
	v_addc_co_u32_e32 v43, vcc, v43, v47, vcc
	v_add_co_u32_e32 v42, vcc, v42, v48
	v_addc_co_u32_e32 v43, vcc, v43, v49, vcc
	s_waitcnt vmcnt(4)
	v_mul_f64 v[46:47], v[6:7], v[16:17]
	s_waitcnt lgkmcnt(3)
	v_mul_f64 v[16:17], v[36:37], v[16:17]
	s_waitcnt vmcnt(2)
	v_mul_f64 v[50:51], v[0:1], v[24:25]
	s_waitcnt vmcnt(1)
	v_mul_f64 v[52:53], v[10:11], v[28:29]
	v_mul_f64 v[48:49], v[2:3], v[20:21]
	s_waitcnt lgkmcnt(2)
	v_mul_f64 v[20:21], v[40:41], v[20:21]
	s_waitcnt vmcnt(0)
	v_mul_f64 v[54:55], v[4:5], v[30:31]
	v_mul_f64 v[24:25], v[38:39], v[24:25]
	s_waitcnt lgkmcnt(0)
	v_mul_f64 v[28:29], v[12:13], v[28:29]
	v_mul_f64 v[4:5], v[4:5], v[32:33]
	v_fma_f64 v[36:37], v[36:37], v[14:15], -v[46:47]
	v_fma_f64 v[6:7], v[6:7], v[14:15], v[16:17]
	v_fma_f64 v[14:15], v[38:39], v[22:23], -v[50:51]
	v_fma_f64 v[12:13], v[12:13], v[26:27], -v[52:53]
	;; [unrolled: 1-line block ×3, first 2 shown]
	v_fma_f64 v[2:3], v[2:3], v[18:19], v[20:21]
	v_fma_f64 v[0:1], v[0:1], v[22:23], v[24:25]
	v_fma_f64 v[10:11], v[10:11], v[26:27], v[28:29]
	v_fma_f64 v[4:5], v[34:35], v[30:31], -v[4:5]
	v_fma_f64 v[16:17], v[34:35], v[32:33], v[54:55]
	v_add_f64 v[31:32], v[44:45], v[36:37]
	v_add_f64 v[18:19], v[14:15], v[12:13]
	v_add_f64 v[25:26], v[14:15], -v[12:13]
	v_add_f64 v[20:21], v[36:37], v[40:41]
	v_add_f64 v[22:23], v[6:7], -v[2:3]
	;; [unrolled: 2-line block ×3, first 2 shown]
	v_add_f64 v[14:15], v[14:15], v[4:5]
	v_add_f64 v[33:34], v[6:7], v[2:3]
	v_fma_f64 v[4:5], v[18:19], -0.5, v[4:5]
	v_add_f64 v[6:7], v[8:9], v[6:7]
	v_add_f64 v[0:1], v[0:1], v[16:17]
	v_add_f64 v[18:19], v[36:37], -v[40:41]
	v_fma_f64 v[16:17], v[27:28], -0.5, v[16:17]
	v_add_f64 v[27:28], v[31:32], v[40:41]
	v_fma_f64 v[20:21], v[20:21], -0.5, v[44:45]
	v_add_f64 v[12:13], v[12:13], v[14:15]
	v_fma_f64 v[31:32], v[29:30], s[0:1], v[4:5]
	v_fma_f64 v[4:5], v[29:30], s[4:5], v[4:5]
	v_fma_f64 v[8:9], v[33:34], -0.5, v[8:9]
	v_add_f64 v[14:15], v[6:7], v[2:3]
	v_add_f64 v[10:11], v[10:11], v[0:1]
	v_fma_f64 v[0:1], v[25:26], s[4:5], v[16:17]
	v_fma_f64 v[6:7], v[25:26], s[0:1], v[16:17]
	v_add_f64 v[2:3], v[27:28], -v[12:13]
	v_mul_f64 v[29:30], v[31:32], s[0:1]
	v_mul_f64 v[25:26], v[4:5], 0.5
	v_mul_f64 v[4:5], v[4:5], s[0:1]
	v_mul_f64 v[16:17], v[31:32], -0.5
	v_fma_f64 v[31:32], v[22:23], s[0:1], v[20:21]
	v_fma_f64 v[20:21], v[22:23], s[4:5], v[20:21]
	;; [unrolled: 1-line block ×3, first 2 shown]
	v_add_co_u32_e32 v24, vcc, 0x1000, v42
	v_fma_f64 v[22:23], v[6:7], s[4:5], v[25:26]
	v_fma_f64 v[25:26], v[0:1], -0.5, v[29:30]
	v_fma_f64 v[29:30], v[18:19], s[0:1], v[8:9]
	v_fma_f64 v[35:36], v[6:7], 0.5, v[4:5]
	v_fma_f64 v[16:17], v[0:1], s[4:5], v[16:17]
	v_add_f64 v[6:7], v[27:28], v[12:13]
	v_add_f64 v[4:5], v[14:15], v[10:11]
	v_add_f64 v[0:1], v[14:15], -v[10:11]
	v_add_f64 v[14:15], v[20:21], -v[22:23]
	v_add_f64 v[22:23], v[20:21], v[22:23]
	v_add_f64 v[8:9], v[33:34], -v[25:26]
	v_add_f64 v[20:21], v[29:30], v[35:36]
	;; [unrolled: 2-line block ×3, first 2 shown]
	v_add_f64 v[16:17], v[33:34], v[25:26]
	v_add_f64 v[12:13], v[29:30], -v[35:36]
	v_addc_co_u32_e32 v25, vcc, 0, v43, vcc
	global_store_dwordx4 v[42:43], v[4:7], off
	global_store_dwordx4 v[42:43], v[0:3], off offset:2880
	global_store_dwordx4 v[42:43], v[20:23], off offset:960
	;; [unrolled: 1-line block ×5, first 2 shown]
.LBB0_19:
	s_endpgm
	.section	.rodata,"a",@progbits
	.p2align	6, 0x0
	.amdhsa_kernel fft_rtc_back_len360_factors_10_6_6_wgs_240_tpt_60_halfLds_dp_op_CI_CI_unitstride_sbrr_dirReg
		.amdhsa_group_segment_fixed_size 0
		.amdhsa_private_segment_fixed_size 0
		.amdhsa_kernarg_size 104
		.amdhsa_user_sgpr_count 6
		.amdhsa_user_sgpr_private_segment_buffer 1
		.amdhsa_user_sgpr_dispatch_ptr 0
		.amdhsa_user_sgpr_queue_ptr 0
		.amdhsa_user_sgpr_kernarg_segment_ptr 1
		.amdhsa_user_sgpr_dispatch_id 0
		.amdhsa_user_sgpr_flat_scratch_init 0
		.amdhsa_user_sgpr_private_segment_size 0
		.amdhsa_uses_dynamic_stack 0
		.amdhsa_system_sgpr_private_segment_wavefront_offset 0
		.amdhsa_system_sgpr_workgroup_id_x 1
		.amdhsa_system_sgpr_workgroup_id_y 0
		.amdhsa_system_sgpr_workgroup_id_z 0
		.amdhsa_system_sgpr_workgroup_info 0
		.amdhsa_system_vgpr_workitem_id 0
		.amdhsa_next_free_vgpr 83
		.amdhsa_next_free_sgpr 28
		.amdhsa_reserve_vcc 1
		.amdhsa_reserve_flat_scratch 0
		.amdhsa_float_round_mode_32 0
		.amdhsa_float_round_mode_16_64 0
		.amdhsa_float_denorm_mode_32 3
		.amdhsa_float_denorm_mode_16_64 3
		.amdhsa_dx10_clamp 1
		.amdhsa_ieee_mode 1
		.amdhsa_fp16_overflow 0
		.amdhsa_exception_fp_ieee_invalid_op 0
		.amdhsa_exception_fp_denorm_src 0
		.amdhsa_exception_fp_ieee_div_zero 0
		.amdhsa_exception_fp_ieee_overflow 0
		.amdhsa_exception_fp_ieee_underflow 0
		.amdhsa_exception_fp_ieee_inexact 0
		.amdhsa_exception_int_div_zero 0
	.end_amdhsa_kernel
	.text
.Lfunc_end0:
	.size	fft_rtc_back_len360_factors_10_6_6_wgs_240_tpt_60_halfLds_dp_op_CI_CI_unitstride_sbrr_dirReg, .Lfunc_end0-fft_rtc_back_len360_factors_10_6_6_wgs_240_tpt_60_halfLds_dp_op_CI_CI_unitstride_sbrr_dirReg
                                        ; -- End function
	.section	.AMDGPU.csdata,"",@progbits
; Kernel info:
; codeLenInByte = 4680
; NumSgprs: 32
; NumVgprs: 83
; ScratchSize: 0
; MemoryBound: 1
; FloatMode: 240
; IeeeMode: 1
; LDSByteSize: 0 bytes/workgroup (compile time only)
; SGPRBlocks: 3
; VGPRBlocks: 20
; NumSGPRsForWavesPerEU: 32
; NumVGPRsForWavesPerEU: 83
; Occupancy: 3
; WaveLimiterHint : 1
; COMPUTE_PGM_RSRC2:SCRATCH_EN: 0
; COMPUTE_PGM_RSRC2:USER_SGPR: 6
; COMPUTE_PGM_RSRC2:TRAP_HANDLER: 0
; COMPUTE_PGM_RSRC2:TGID_X_EN: 1
; COMPUTE_PGM_RSRC2:TGID_Y_EN: 0
; COMPUTE_PGM_RSRC2:TGID_Z_EN: 0
; COMPUTE_PGM_RSRC2:TIDIG_COMP_CNT: 0
	.type	__hip_cuid_d9cd6f484dde0619,@object ; @__hip_cuid_d9cd6f484dde0619
	.section	.bss,"aw",@nobits
	.globl	__hip_cuid_d9cd6f484dde0619
__hip_cuid_d9cd6f484dde0619:
	.byte	0                               ; 0x0
	.size	__hip_cuid_d9cd6f484dde0619, 1

	.ident	"AMD clang version 19.0.0git (https://github.com/RadeonOpenCompute/llvm-project roc-6.4.0 25133 c7fe45cf4b819c5991fe208aaa96edf142730f1d)"
	.section	".note.GNU-stack","",@progbits
	.addrsig
	.addrsig_sym __hip_cuid_d9cd6f484dde0619
	.amdgpu_metadata
---
amdhsa.kernels:
  - .args:
      - .actual_access:  read_only
        .address_space:  global
        .offset:         0
        .size:           8
        .value_kind:     global_buffer
      - .offset:         8
        .size:           8
        .value_kind:     by_value
      - .actual_access:  read_only
        .address_space:  global
        .offset:         16
        .size:           8
        .value_kind:     global_buffer
      - .actual_access:  read_only
        .address_space:  global
        .offset:         24
        .size:           8
        .value_kind:     global_buffer
      - .actual_access:  read_only
        .address_space:  global
        .offset:         32
        .size:           8
        .value_kind:     global_buffer
      - .offset:         40
        .size:           8
        .value_kind:     by_value
      - .actual_access:  read_only
        .address_space:  global
        .offset:         48
        .size:           8
        .value_kind:     global_buffer
      - .actual_access:  read_only
        .address_space:  global
        .offset:         56
        .size:           8
        .value_kind:     global_buffer
      - .offset:         64
        .size:           4
        .value_kind:     by_value
      - .actual_access:  read_only
        .address_space:  global
        .offset:         72
        .size:           8
        .value_kind:     global_buffer
      - .actual_access:  read_only
        .address_space:  global
        .offset:         80
        .size:           8
        .value_kind:     global_buffer
      - .actual_access:  read_only
        .address_space:  global
        .offset:         88
        .size:           8
        .value_kind:     global_buffer
      - .actual_access:  write_only
        .address_space:  global
        .offset:         96
        .size:           8
        .value_kind:     global_buffer
    .group_segment_fixed_size: 0
    .kernarg_segment_align: 8
    .kernarg_segment_size: 104
    .language:       OpenCL C
    .language_version:
      - 2
      - 0
    .max_flat_workgroup_size: 240
    .name:           fft_rtc_back_len360_factors_10_6_6_wgs_240_tpt_60_halfLds_dp_op_CI_CI_unitstride_sbrr_dirReg
    .private_segment_fixed_size: 0
    .sgpr_count:     32
    .sgpr_spill_count: 0
    .symbol:         fft_rtc_back_len360_factors_10_6_6_wgs_240_tpt_60_halfLds_dp_op_CI_CI_unitstride_sbrr_dirReg.kd
    .uniform_work_group_size: 1
    .uses_dynamic_stack: false
    .vgpr_count:     83
    .vgpr_spill_count: 0
    .wavefront_size: 64
amdhsa.target:   amdgcn-amd-amdhsa--gfx906
amdhsa.version:
  - 1
  - 2
...

	.end_amdgpu_metadata
